;; amdgpu-corpus repo=zjin-lcf/HeCBench kind=compiled arch=gfx906 opt=O3
	.amdgcn_target "amdgcn-amd-amdhsa--gfx906"
	.amdhsa_code_object_version 6
	.section	.text._Z18BlockAdjDiffKernelILi64EEvPKiPib,"axG",@progbits,_Z18BlockAdjDiffKernelILi64EEvPKiPib,comdat
	.protected	_Z18BlockAdjDiffKernelILi64EEvPKiPib ; -- Begin function _Z18BlockAdjDiffKernelILi64EEvPKiPib
	.globl	_Z18BlockAdjDiffKernelILi64EEvPKiPib
	.p2align	8
	.type	_Z18BlockAdjDiffKernelILi64EEvPKiPib,@function
_Z18BlockAdjDiffKernelILi64EEvPKiPib:   ; @_Z18BlockAdjDiffKernelILi64EEvPKiPib
; %bb.0:
	s_load_dword s7, s[4:5], 0x24
	s_load_dwordx4 s[0:3], s[4:5], 0x0
	s_load_dword s8, s[4:5], 0x10
	v_lshlrev_b32_e32 v6, 2, v0
	s_waitcnt lgkmcnt(0)
	s_and_b32 s4, s7, 0xffff
	s_mul_i32 s6, s6, s4
	v_add_u32_e32 v1, s6, v0
	v_ashrrev_i32_e32 v2, 31, v1
	v_lshlrev_b64 v[9:10], 4, v[1:2]
	v_mov_b32_e32 v2, s1
	v_add_co_u32_e32 v1, vcc, s0, v9
	v_addc_co_u32_e32 v2, vcc, v2, v10, vcc
	global_load_dwordx4 v[1:4], v[1:2], off
	s_and_b32 s0, s8, 1
	s_cmp_eq_u32 s0, 0
	s_cbranch_scc0 .LBB0_4
; %bb.1:
	v_cmp_ne_u32_e32 vcc, 63, v0
	s_waitcnt vmcnt(0)
	v_mov_b32_e32 v8, v4
	ds_write_b32 v6, v1 offset:256
	s_waitcnt lgkmcnt(0)
	s_barrier
	s_and_saveexec_b64 s[0:1], vcc
	s_cbranch_execz .LBB0_3
; %bb.2:
	ds_read_b32 v5, v6 offset:260
	s_waitcnt lgkmcnt(0)
	v_sub_u32_e32 v8, v4, v5
.LBB0_3:
	s_or_b64 exec, exec, s[0:1]
	v_sub_u32_e32 v5, v1, v2
	v_mov_b32_e32 v11, v3
	s_cbranch_execz .LBB0_5
	s_branch .LBB0_8
.LBB0_4:
                                        ; implicit-def: $vgpr8
	s_waitcnt vmcnt(0)
	v_mov_b32_e32 v11, v3
.LBB0_5:
	v_cmp_ne_u32_e32 vcc, 0, v0
	v_mov_b32_e32 v5, v1
	ds_write_b32 v6, v4
	s_waitcnt lgkmcnt(0)
	s_barrier
	s_and_saveexec_b64 s[0:1], vcc
	s_cbranch_execz .LBB0_7
; %bb.6:
	v_add_u32_e32 v0, -4, v6
	ds_read_b32 v0, v0
	s_waitcnt lgkmcnt(0)
	v_sub_u32_e32 v5, v1, v0
.LBB0_7:
	s_or_b64 exec, exec, s[0:1]
	v_sub_u32_e32 v8, v4, v3
	v_mov_b32_e32 v11, v1
	v_mov_b32_e32 v4, v2
.LBB0_8:
	v_mov_b32_e32 v1, s3
	v_add_co_u32_e32 v0, vcc, s2, v9
	v_sub_u32_e32 v7, v3, v4
	v_sub_u32_e32 v6, v2, v11
	v_addc_co_u32_e32 v1, vcc, v1, v10, vcc
	global_store_dwordx4 v[0:1], v[5:8], off
	s_endpgm
	.section	.rodata,"a",@progbits
	.p2align	6, 0x0
	.amdhsa_kernel _Z18BlockAdjDiffKernelILi64EEvPKiPib
		.amdhsa_group_segment_fixed_size 512
		.amdhsa_private_segment_fixed_size 0
		.amdhsa_kernarg_size 280
		.amdhsa_user_sgpr_count 6
		.amdhsa_user_sgpr_private_segment_buffer 1
		.amdhsa_user_sgpr_dispatch_ptr 0
		.amdhsa_user_sgpr_queue_ptr 0
		.amdhsa_user_sgpr_kernarg_segment_ptr 1
		.amdhsa_user_sgpr_dispatch_id 0
		.amdhsa_user_sgpr_flat_scratch_init 0
		.amdhsa_user_sgpr_private_segment_size 0
		.amdhsa_uses_dynamic_stack 0
		.amdhsa_system_sgpr_private_segment_wavefront_offset 0
		.amdhsa_system_sgpr_workgroup_id_x 1
		.amdhsa_system_sgpr_workgroup_id_y 0
		.amdhsa_system_sgpr_workgroup_id_z 0
		.amdhsa_system_sgpr_workgroup_info 0
		.amdhsa_system_vgpr_workitem_id 0
		.amdhsa_next_free_vgpr 12
		.amdhsa_next_free_sgpr 9
		.amdhsa_reserve_vcc 1
		.amdhsa_reserve_flat_scratch 0
		.amdhsa_float_round_mode_32 0
		.amdhsa_float_round_mode_16_64 0
		.amdhsa_float_denorm_mode_32 3
		.amdhsa_float_denorm_mode_16_64 3
		.amdhsa_dx10_clamp 1
		.amdhsa_ieee_mode 1
		.amdhsa_fp16_overflow 0
		.amdhsa_exception_fp_ieee_invalid_op 0
		.amdhsa_exception_fp_denorm_src 0
		.amdhsa_exception_fp_ieee_div_zero 0
		.amdhsa_exception_fp_ieee_overflow 0
		.amdhsa_exception_fp_ieee_underflow 0
		.amdhsa_exception_fp_ieee_inexact 0
		.amdhsa_exception_int_div_zero 0
	.end_amdhsa_kernel
	.section	.text._Z18BlockAdjDiffKernelILi64EEvPKiPib,"axG",@progbits,_Z18BlockAdjDiffKernelILi64EEvPKiPib,comdat
.Lfunc_end0:
	.size	_Z18BlockAdjDiffKernelILi64EEvPKiPib, .Lfunc_end0-_Z18BlockAdjDiffKernelILi64EEvPKiPib
                                        ; -- End function
	.set _Z18BlockAdjDiffKernelILi64EEvPKiPib.num_vgpr, 12
	.set _Z18BlockAdjDiffKernelILi64EEvPKiPib.num_agpr, 0
	.set _Z18BlockAdjDiffKernelILi64EEvPKiPib.numbered_sgpr, 9
	.set _Z18BlockAdjDiffKernelILi64EEvPKiPib.num_named_barrier, 0
	.set _Z18BlockAdjDiffKernelILi64EEvPKiPib.private_seg_size, 0
	.set _Z18BlockAdjDiffKernelILi64EEvPKiPib.uses_vcc, 1
	.set _Z18BlockAdjDiffKernelILi64EEvPKiPib.uses_flat_scratch, 0
	.set _Z18BlockAdjDiffKernelILi64EEvPKiPib.has_dyn_sized_stack, 0
	.set _Z18BlockAdjDiffKernelILi64EEvPKiPib.has_recursion, 0
	.set _Z18BlockAdjDiffKernelILi64EEvPKiPib.has_indirect_call, 0
	.section	.AMDGPU.csdata,"",@progbits
; Kernel info:
; codeLenInByte = 272
; TotalNumSgprs: 13
; NumVgprs: 12
; ScratchSize: 0
; MemoryBound: 0
; FloatMode: 240
; IeeeMode: 1
; LDSByteSize: 512 bytes/workgroup (compile time only)
; SGPRBlocks: 1
; VGPRBlocks: 2
; NumSGPRsForWavesPerEU: 13
; NumVGPRsForWavesPerEU: 12
; Occupancy: 10
; WaveLimiterHint : 0
; COMPUTE_PGM_RSRC2:SCRATCH_EN: 0
; COMPUTE_PGM_RSRC2:USER_SGPR: 6
; COMPUTE_PGM_RSRC2:TRAP_HANDLER: 0
; COMPUTE_PGM_RSRC2:TGID_X_EN: 1
; COMPUTE_PGM_RSRC2:TGID_Y_EN: 0
; COMPUTE_PGM_RSRC2:TGID_Z_EN: 0
; COMPUTE_PGM_RSRC2:TIDIG_COMP_CNT: 0
	.section	.text._Z18BlockAdjDiffKernelILi128EEvPKiPib,"axG",@progbits,_Z18BlockAdjDiffKernelILi128EEvPKiPib,comdat
	.protected	_Z18BlockAdjDiffKernelILi128EEvPKiPib ; -- Begin function _Z18BlockAdjDiffKernelILi128EEvPKiPib
	.globl	_Z18BlockAdjDiffKernelILi128EEvPKiPib
	.p2align	8
	.type	_Z18BlockAdjDiffKernelILi128EEvPKiPib,@function
_Z18BlockAdjDiffKernelILi128EEvPKiPib:  ; @_Z18BlockAdjDiffKernelILi128EEvPKiPib
; %bb.0:
	s_load_dword s7, s[4:5], 0x24
	s_load_dwordx4 s[0:3], s[4:5], 0x0
	s_load_dword s8, s[4:5], 0x10
	v_lshlrev_b32_e32 v6, 2, v0
	s_waitcnt lgkmcnt(0)
	s_and_b32 s4, s7, 0xffff
	s_mul_i32 s6, s6, s4
	v_add_u32_e32 v1, s6, v0
	v_ashrrev_i32_e32 v2, 31, v1
	v_lshlrev_b64 v[9:10], 4, v[1:2]
	v_mov_b32_e32 v2, s1
	v_add_co_u32_e32 v1, vcc, s0, v9
	v_addc_co_u32_e32 v2, vcc, v2, v10, vcc
	global_load_dwordx4 v[1:4], v[1:2], off
	s_and_b32 s0, s8, 1
	s_cmp_eq_u32 s0, 0
	s_cbranch_scc0 .LBB1_4
; %bb.1:
	s_movk_i32 s0, 0x7f
	v_cmp_ne_u32_e32 vcc, s0, v0
	s_waitcnt vmcnt(0)
	v_mov_b32_e32 v8, v4
	ds_write_b32 v6, v1 offset:512
	s_waitcnt lgkmcnt(0)
	s_barrier
	s_and_saveexec_b64 s[0:1], vcc
	s_cbranch_execz .LBB1_3
; %bb.2:
	ds_read_b32 v5, v6 offset:516
	s_waitcnt lgkmcnt(0)
	v_sub_u32_e32 v8, v4, v5
.LBB1_3:
	s_or_b64 exec, exec, s[0:1]
	v_sub_u32_e32 v5, v1, v2
	v_mov_b32_e32 v11, v3
	s_cbranch_execz .LBB1_5
	s_branch .LBB1_8
.LBB1_4:
                                        ; implicit-def: $vgpr8
	s_waitcnt vmcnt(0)
	v_mov_b32_e32 v11, v3
.LBB1_5:
	v_cmp_ne_u32_e32 vcc, 0, v0
	v_mov_b32_e32 v5, v1
	ds_write_b32 v6, v4
	s_waitcnt lgkmcnt(0)
	s_barrier
	s_and_saveexec_b64 s[0:1], vcc
	s_cbranch_execz .LBB1_7
; %bb.6:
	v_add_u32_e32 v0, -4, v6
	ds_read_b32 v0, v0
	s_waitcnt lgkmcnt(0)
	v_sub_u32_e32 v5, v1, v0
.LBB1_7:
	s_or_b64 exec, exec, s[0:1]
	v_sub_u32_e32 v8, v4, v3
	v_mov_b32_e32 v11, v1
	v_mov_b32_e32 v4, v2
.LBB1_8:
	v_mov_b32_e32 v1, s3
	v_add_co_u32_e32 v0, vcc, s2, v9
	v_sub_u32_e32 v7, v3, v4
	v_sub_u32_e32 v6, v2, v11
	v_addc_co_u32_e32 v1, vcc, v1, v10, vcc
	global_store_dwordx4 v[0:1], v[5:8], off
	s_endpgm
	.section	.rodata,"a",@progbits
	.p2align	6, 0x0
	.amdhsa_kernel _Z18BlockAdjDiffKernelILi128EEvPKiPib
		.amdhsa_group_segment_fixed_size 1024
		.amdhsa_private_segment_fixed_size 0
		.amdhsa_kernarg_size 280
		.amdhsa_user_sgpr_count 6
		.amdhsa_user_sgpr_private_segment_buffer 1
		.amdhsa_user_sgpr_dispatch_ptr 0
		.amdhsa_user_sgpr_queue_ptr 0
		.amdhsa_user_sgpr_kernarg_segment_ptr 1
		.amdhsa_user_sgpr_dispatch_id 0
		.amdhsa_user_sgpr_flat_scratch_init 0
		.amdhsa_user_sgpr_private_segment_size 0
		.amdhsa_uses_dynamic_stack 0
		.amdhsa_system_sgpr_private_segment_wavefront_offset 0
		.amdhsa_system_sgpr_workgroup_id_x 1
		.amdhsa_system_sgpr_workgroup_id_y 0
		.amdhsa_system_sgpr_workgroup_id_z 0
		.amdhsa_system_sgpr_workgroup_info 0
		.amdhsa_system_vgpr_workitem_id 0
		.amdhsa_next_free_vgpr 12
		.amdhsa_next_free_sgpr 9
		.amdhsa_reserve_vcc 1
		.amdhsa_reserve_flat_scratch 0
		.amdhsa_float_round_mode_32 0
		.amdhsa_float_round_mode_16_64 0
		.amdhsa_float_denorm_mode_32 3
		.amdhsa_float_denorm_mode_16_64 3
		.amdhsa_dx10_clamp 1
		.amdhsa_ieee_mode 1
		.amdhsa_fp16_overflow 0
		.amdhsa_exception_fp_ieee_invalid_op 0
		.amdhsa_exception_fp_denorm_src 0
		.amdhsa_exception_fp_ieee_div_zero 0
		.amdhsa_exception_fp_ieee_overflow 0
		.amdhsa_exception_fp_ieee_underflow 0
		.amdhsa_exception_fp_ieee_inexact 0
		.amdhsa_exception_int_div_zero 0
	.end_amdhsa_kernel
	.section	.text._Z18BlockAdjDiffKernelILi128EEvPKiPib,"axG",@progbits,_Z18BlockAdjDiffKernelILi128EEvPKiPib,comdat
.Lfunc_end1:
	.size	_Z18BlockAdjDiffKernelILi128EEvPKiPib, .Lfunc_end1-_Z18BlockAdjDiffKernelILi128EEvPKiPib
                                        ; -- End function
	.set _Z18BlockAdjDiffKernelILi128EEvPKiPib.num_vgpr, 12
	.set _Z18BlockAdjDiffKernelILi128EEvPKiPib.num_agpr, 0
	.set _Z18BlockAdjDiffKernelILi128EEvPKiPib.numbered_sgpr, 9
	.set _Z18BlockAdjDiffKernelILi128EEvPKiPib.num_named_barrier, 0
	.set _Z18BlockAdjDiffKernelILi128EEvPKiPib.private_seg_size, 0
	.set _Z18BlockAdjDiffKernelILi128EEvPKiPib.uses_vcc, 1
	.set _Z18BlockAdjDiffKernelILi128EEvPKiPib.uses_flat_scratch, 0
	.set _Z18BlockAdjDiffKernelILi128EEvPKiPib.has_dyn_sized_stack, 0
	.set _Z18BlockAdjDiffKernelILi128EEvPKiPib.has_recursion, 0
	.set _Z18BlockAdjDiffKernelILi128EEvPKiPib.has_indirect_call, 0
	.section	.AMDGPU.csdata,"",@progbits
; Kernel info:
; codeLenInByte = 276
; TotalNumSgprs: 13
; NumVgprs: 12
; ScratchSize: 0
; MemoryBound: 0
; FloatMode: 240
; IeeeMode: 1
; LDSByteSize: 1024 bytes/workgroup (compile time only)
; SGPRBlocks: 1
; VGPRBlocks: 2
; NumSGPRsForWavesPerEU: 13
; NumVGPRsForWavesPerEU: 12
; Occupancy: 10
; WaveLimiterHint : 0
; COMPUTE_PGM_RSRC2:SCRATCH_EN: 0
; COMPUTE_PGM_RSRC2:USER_SGPR: 6
; COMPUTE_PGM_RSRC2:TRAP_HANDLER: 0
; COMPUTE_PGM_RSRC2:TGID_X_EN: 1
; COMPUTE_PGM_RSRC2:TGID_Y_EN: 0
; COMPUTE_PGM_RSRC2:TGID_Z_EN: 0
; COMPUTE_PGM_RSRC2:TIDIG_COMP_CNT: 0
	.section	.text._Z18BlockAdjDiffKernelILi256EEvPKiPib,"axG",@progbits,_Z18BlockAdjDiffKernelILi256EEvPKiPib,comdat
	.protected	_Z18BlockAdjDiffKernelILi256EEvPKiPib ; -- Begin function _Z18BlockAdjDiffKernelILi256EEvPKiPib
	.globl	_Z18BlockAdjDiffKernelILi256EEvPKiPib
	.p2align	8
	.type	_Z18BlockAdjDiffKernelILi256EEvPKiPib,@function
_Z18BlockAdjDiffKernelILi256EEvPKiPib:  ; @_Z18BlockAdjDiffKernelILi256EEvPKiPib
; %bb.0:
	s_load_dword s7, s[4:5], 0x24
	s_load_dwordx4 s[0:3], s[4:5], 0x0
	s_load_dword s8, s[4:5], 0x10
	v_lshlrev_b32_e32 v6, 2, v0
	s_waitcnt lgkmcnt(0)
	s_and_b32 s4, s7, 0xffff
	s_mul_i32 s6, s6, s4
	v_add_u32_e32 v1, s6, v0
	v_ashrrev_i32_e32 v2, 31, v1
	v_lshlrev_b64 v[9:10], 4, v[1:2]
	v_mov_b32_e32 v2, s1
	v_add_co_u32_e32 v1, vcc, s0, v9
	v_addc_co_u32_e32 v2, vcc, v2, v10, vcc
	global_load_dwordx4 v[1:4], v[1:2], off
	s_and_b32 s0, s8, 1
	s_cmp_eq_u32 s0, 0
	s_cbranch_scc0 .LBB2_4
; %bb.1:
	s_movk_i32 s0, 0xff
	v_cmp_ne_u32_e32 vcc, s0, v0
	s_waitcnt vmcnt(0)
	v_mov_b32_e32 v8, v4
	ds_write_b32 v6, v1 offset:1024
	s_waitcnt lgkmcnt(0)
	s_barrier
	s_and_saveexec_b64 s[0:1], vcc
	s_cbranch_execz .LBB2_3
; %bb.2:
	ds_read_b32 v5, v6 offset:1028
	s_waitcnt lgkmcnt(0)
	v_sub_u32_e32 v8, v4, v5
.LBB2_3:
	s_or_b64 exec, exec, s[0:1]
	v_sub_u32_e32 v5, v1, v2
	v_mov_b32_e32 v11, v3
	s_cbranch_execz .LBB2_5
	s_branch .LBB2_8
.LBB2_4:
                                        ; implicit-def: $vgpr8
	s_waitcnt vmcnt(0)
	v_mov_b32_e32 v11, v3
.LBB2_5:
	v_cmp_ne_u32_e32 vcc, 0, v0
	v_mov_b32_e32 v5, v1
	ds_write_b32 v6, v4
	s_waitcnt lgkmcnt(0)
	s_barrier
	s_and_saveexec_b64 s[0:1], vcc
	s_cbranch_execz .LBB2_7
; %bb.6:
	v_add_u32_e32 v0, -4, v6
	ds_read_b32 v0, v0
	s_waitcnt lgkmcnt(0)
	v_sub_u32_e32 v5, v1, v0
.LBB2_7:
	s_or_b64 exec, exec, s[0:1]
	v_sub_u32_e32 v8, v4, v3
	v_mov_b32_e32 v11, v1
	v_mov_b32_e32 v4, v2
.LBB2_8:
	v_mov_b32_e32 v1, s3
	v_add_co_u32_e32 v0, vcc, s2, v9
	v_sub_u32_e32 v7, v3, v4
	v_sub_u32_e32 v6, v2, v11
	v_addc_co_u32_e32 v1, vcc, v1, v10, vcc
	global_store_dwordx4 v[0:1], v[5:8], off
	s_endpgm
	.section	.rodata,"a",@progbits
	.p2align	6, 0x0
	.amdhsa_kernel _Z18BlockAdjDiffKernelILi256EEvPKiPib
		.amdhsa_group_segment_fixed_size 2048
		.amdhsa_private_segment_fixed_size 0
		.amdhsa_kernarg_size 280
		.amdhsa_user_sgpr_count 6
		.amdhsa_user_sgpr_private_segment_buffer 1
		.amdhsa_user_sgpr_dispatch_ptr 0
		.amdhsa_user_sgpr_queue_ptr 0
		.amdhsa_user_sgpr_kernarg_segment_ptr 1
		.amdhsa_user_sgpr_dispatch_id 0
		.amdhsa_user_sgpr_flat_scratch_init 0
		.amdhsa_user_sgpr_private_segment_size 0
		.amdhsa_uses_dynamic_stack 0
		.amdhsa_system_sgpr_private_segment_wavefront_offset 0
		.amdhsa_system_sgpr_workgroup_id_x 1
		.amdhsa_system_sgpr_workgroup_id_y 0
		.amdhsa_system_sgpr_workgroup_id_z 0
		.amdhsa_system_sgpr_workgroup_info 0
		.amdhsa_system_vgpr_workitem_id 0
		.amdhsa_next_free_vgpr 29
		.amdhsa_next_free_sgpr 61
		.amdhsa_reserve_vcc 1
		.amdhsa_reserve_flat_scratch 0
		.amdhsa_float_round_mode_32 0
		.amdhsa_float_round_mode_16_64 0
		.amdhsa_float_denorm_mode_32 3
		.amdhsa_float_denorm_mode_16_64 3
		.amdhsa_dx10_clamp 1
		.amdhsa_ieee_mode 1
		.amdhsa_fp16_overflow 0
		.amdhsa_exception_fp_ieee_invalid_op 0
		.amdhsa_exception_fp_denorm_src 0
		.amdhsa_exception_fp_ieee_div_zero 0
		.amdhsa_exception_fp_ieee_overflow 0
		.amdhsa_exception_fp_ieee_underflow 0
		.amdhsa_exception_fp_ieee_inexact 0
		.amdhsa_exception_int_div_zero 0
	.end_amdhsa_kernel
	.section	.text._Z18BlockAdjDiffKernelILi256EEvPKiPib,"axG",@progbits,_Z18BlockAdjDiffKernelILi256EEvPKiPib,comdat
.Lfunc_end2:
	.size	_Z18BlockAdjDiffKernelILi256EEvPKiPib, .Lfunc_end2-_Z18BlockAdjDiffKernelILi256EEvPKiPib
                                        ; -- End function
	.set _Z18BlockAdjDiffKernelILi256EEvPKiPib.num_vgpr, 12
	.set _Z18BlockAdjDiffKernelILi256EEvPKiPib.num_agpr, 0
	.set _Z18BlockAdjDiffKernelILi256EEvPKiPib.numbered_sgpr, 9
	.set _Z18BlockAdjDiffKernelILi256EEvPKiPib.num_named_barrier, 0
	.set _Z18BlockAdjDiffKernelILi256EEvPKiPib.private_seg_size, 0
	.set _Z18BlockAdjDiffKernelILi256EEvPKiPib.uses_vcc, 1
	.set _Z18BlockAdjDiffKernelILi256EEvPKiPib.uses_flat_scratch, 0
	.set _Z18BlockAdjDiffKernelILi256EEvPKiPib.has_dyn_sized_stack, 0
	.set _Z18BlockAdjDiffKernelILi256EEvPKiPib.has_recursion, 0
	.set _Z18BlockAdjDiffKernelILi256EEvPKiPib.has_indirect_call, 0
	.section	.AMDGPU.csdata,"",@progbits
; Kernel info:
; codeLenInByte = 276
; TotalNumSgprs: 13
; NumVgprs: 12
; ScratchSize: 0
; MemoryBound: 0
; FloatMode: 240
; IeeeMode: 1
; LDSByteSize: 2048 bytes/workgroup (compile time only)
; SGPRBlocks: 8
; VGPRBlocks: 7
; NumSGPRsForWavesPerEU: 65
; NumVGPRsForWavesPerEU: 29
; Occupancy: 8
; WaveLimiterHint : 0
; COMPUTE_PGM_RSRC2:SCRATCH_EN: 0
; COMPUTE_PGM_RSRC2:USER_SGPR: 6
; COMPUTE_PGM_RSRC2:TRAP_HANDLER: 0
; COMPUTE_PGM_RSRC2:TGID_X_EN: 1
; COMPUTE_PGM_RSRC2:TGID_Y_EN: 0
; COMPUTE_PGM_RSRC2:TGID_Z_EN: 0
; COMPUTE_PGM_RSRC2:TIDIG_COMP_CNT: 0
	.section	.text._Z18BlockAdjDiffKernelILi512EEvPKiPib,"axG",@progbits,_Z18BlockAdjDiffKernelILi512EEvPKiPib,comdat
	.protected	_Z18BlockAdjDiffKernelILi512EEvPKiPib ; -- Begin function _Z18BlockAdjDiffKernelILi512EEvPKiPib
	.globl	_Z18BlockAdjDiffKernelILi512EEvPKiPib
	.p2align	8
	.type	_Z18BlockAdjDiffKernelILi512EEvPKiPib,@function
_Z18BlockAdjDiffKernelILi512EEvPKiPib:  ; @_Z18BlockAdjDiffKernelILi512EEvPKiPib
; %bb.0:
	s_load_dword s7, s[4:5], 0x24
	s_load_dwordx4 s[0:3], s[4:5], 0x0
	s_load_dword s8, s[4:5], 0x10
	v_lshlrev_b32_e32 v6, 2, v0
	s_waitcnt lgkmcnt(0)
	s_and_b32 s4, s7, 0xffff
	s_mul_i32 s6, s6, s4
	v_add_u32_e32 v1, s6, v0
	v_ashrrev_i32_e32 v2, 31, v1
	v_lshlrev_b64 v[9:10], 4, v[1:2]
	v_mov_b32_e32 v2, s1
	v_add_co_u32_e32 v1, vcc, s0, v9
	v_addc_co_u32_e32 v2, vcc, v2, v10, vcc
	global_load_dwordx4 v[1:4], v[1:2], off
	s_and_b32 s0, s8, 1
	s_cmp_eq_u32 s0, 0
	s_cbranch_scc0 .LBB3_4
; %bb.1:
	s_movk_i32 s0, 0x1ff
	v_cmp_ne_u32_e32 vcc, s0, v0
	s_waitcnt vmcnt(0)
	v_mov_b32_e32 v8, v4
	ds_write_b32 v6, v1 offset:2048
	s_waitcnt lgkmcnt(0)
	s_barrier
	s_and_saveexec_b64 s[0:1], vcc
	s_cbranch_execz .LBB3_3
; %bb.2:
	ds_read_b32 v5, v6 offset:2052
	s_waitcnt lgkmcnt(0)
	v_sub_u32_e32 v8, v4, v5
.LBB3_3:
	s_or_b64 exec, exec, s[0:1]
	v_sub_u32_e32 v5, v1, v2
	v_mov_b32_e32 v11, v3
	s_cbranch_execz .LBB3_5
	s_branch .LBB3_8
.LBB3_4:
                                        ; implicit-def: $vgpr8
	s_waitcnt vmcnt(0)
	v_mov_b32_e32 v11, v3
.LBB3_5:
	v_cmp_ne_u32_e32 vcc, 0, v0
	v_mov_b32_e32 v5, v1
	ds_write_b32 v6, v4
	s_waitcnt lgkmcnt(0)
	s_barrier
	s_and_saveexec_b64 s[0:1], vcc
	s_cbranch_execz .LBB3_7
; %bb.6:
	v_add_u32_e32 v0, -4, v6
	ds_read_b32 v0, v0
	s_waitcnt lgkmcnt(0)
	v_sub_u32_e32 v5, v1, v0
.LBB3_7:
	s_or_b64 exec, exec, s[0:1]
	v_sub_u32_e32 v8, v4, v3
	v_mov_b32_e32 v11, v1
	v_mov_b32_e32 v4, v2
.LBB3_8:
	v_mov_b32_e32 v1, s3
	v_add_co_u32_e32 v0, vcc, s2, v9
	v_sub_u32_e32 v7, v3, v4
	v_sub_u32_e32 v6, v2, v11
	v_addc_co_u32_e32 v1, vcc, v1, v10, vcc
	global_store_dwordx4 v[0:1], v[5:8], off
	s_endpgm
	.section	.rodata,"a",@progbits
	.p2align	6, 0x0
	.amdhsa_kernel _Z18BlockAdjDiffKernelILi512EEvPKiPib
		.amdhsa_group_segment_fixed_size 4096
		.amdhsa_private_segment_fixed_size 0
		.amdhsa_kernarg_size 280
		.amdhsa_user_sgpr_count 6
		.amdhsa_user_sgpr_private_segment_buffer 1
		.amdhsa_user_sgpr_dispatch_ptr 0
		.amdhsa_user_sgpr_queue_ptr 0
		.amdhsa_user_sgpr_kernarg_segment_ptr 1
		.amdhsa_user_sgpr_dispatch_id 0
		.amdhsa_user_sgpr_flat_scratch_init 0
		.amdhsa_user_sgpr_private_segment_size 0
		.amdhsa_uses_dynamic_stack 0
		.amdhsa_system_sgpr_private_segment_wavefront_offset 0
		.amdhsa_system_sgpr_workgroup_id_x 1
		.amdhsa_system_sgpr_workgroup_id_y 0
		.amdhsa_system_sgpr_workgroup_id_z 0
		.amdhsa_system_sgpr_workgroup_info 0
		.amdhsa_system_vgpr_workitem_id 0
		.amdhsa_next_free_vgpr 29
		.amdhsa_next_free_sgpr 61
		.amdhsa_reserve_vcc 1
		.amdhsa_reserve_flat_scratch 0
		.amdhsa_float_round_mode_32 0
		.amdhsa_float_round_mode_16_64 0
		.amdhsa_float_denorm_mode_32 3
		.amdhsa_float_denorm_mode_16_64 3
		.amdhsa_dx10_clamp 1
		.amdhsa_ieee_mode 1
		.amdhsa_fp16_overflow 0
		.amdhsa_exception_fp_ieee_invalid_op 0
		.amdhsa_exception_fp_denorm_src 0
		.amdhsa_exception_fp_ieee_div_zero 0
		.amdhsa_exception_fp_ieee_overflow 0
		.amdhsa_exception_fp_ieee_underflow 0
		.amdhsa_exception_fp_ieee_inexact 0
		.amdhsa_exception_int_div_zero 0
	.end_amdhsa_kernel
	.section	.text._Z18BlockAdjDiffKernelILi512EEvPKiPib,"axG",@progbits,_Z18BlockAdjDiffKernelILi512EEvPKiPib,comdat
.Lfunc_end3:
	.size	_Z18BlockAdjDiffKernelILi512EEvPKiPib, .Lfunc_end3-_Z18BlockAdjDiffKernelILi512EEvPKiPib
                                        ; -- End function
	.set _Z18BlockAdjDiffKernelILi512EEvPKiPib.num_vgpr, 12
	.set _Z18BlockAdjDiffKernelILi512EEvPKiPib.num_agpr, 0
	.set _Z18BlockAdjDiffKernelILi512EEvPKiPib.numbered_sgpr, 9
	.set _Z18BlockAdjDiffKernelILi512EEvPKiPib.num_named_barrier, 0
	.set _Z18BlockAdjDiffKernelILi512EEvPKiPib.private_seg_size, 0
	.set _Z18BlockAdjDiffKernelILi512EEvPKiPib.uses_vcc, 1
	.set _Z18BlockAdjDiffKernelILi512EEvPKiPib.uses_flat_scratch, 0
	.set _Z18BlockAdjDiffKernelILi512EEvPKiPib.has_dyn_sized_stack, 0
	.set _Z18BlockAdjDiffKernelILi512EEvPKiPib.has_recursion, 0
	.set _Z18BlockAdjDiffKernelILi512EEvPKiPib.has_indirect_call, 0
	.section	.AMDGPU.csdata,"",@progbits
; Kernel info:
; codeLenInByte = 276
; TotalNumSgprs: 13
; NumVgprs: 12
; ScratchSize: 0
; MemoryBound: 0
; FloatMode: 240
; IeeeMode: 1
; LDSByteSize: 4096 bytes/workgroup (compile time only)
; SGPRBlocks: 8
; VGPRBlocks: 7
; NumSGPRsForWavesPerEU: 65
; NumVGPRsForWavesPerEU: 29
; Occupancy: 8
; WaveLimiterHint : 0
; COMPUTE_PGM_RSRC2:SCRATCH_EN: 0
; COMPUTE_PGM_RSRC2:USER_SGPR: 6
; COMPUTE_PGM_RSRC2:TRAP_HANDLER: 0
; COMPUTE_PGM_RSRC2:TGID_X_EN: 1
; COMPUTE_PGM_RSRC2:TGID_Y_EN: 0
; COMPUTE_PGM_RSRC2:TGID_Z_EN: 0
; COMPUTE_PGM_RSRC2:TIDIG_COMP_CNT: 0
	.section	.text._Z18BlockAdjDiffKernelILi1024EEvPKiPib,"axG",@progbits,_Z18BlockAdjDiffKernelILi1024EEvPKiPib,comdat
	.protected	_Z18BlockAdjDiffKernelILi1024EEvPKiPib ; -- Begin function _Z18BlockAdjDiffKernelILi1024EEvPKiPib
	.globl	_Z18BlockAdjDiffKernelILi1024EEvPKiPib
	.p2align	8
	.type	_Z18BlockAdjDiffKernelILi1024EEvPKiPib,@function
_Z18BlockAdjDiffKernelILi1024EEvPKiPib: ; @_Z18BlockAdjDiffKernelILi1024EEvPKiPib
; %bb.0:
	s_load_dword s7, s[4:5], 0x24
	s_load_dwordx4 s[0:3], s[4:5], 0x0
	s_load_dword s8, s[4:5], 0x10
	v_lshlrev_b32_e32 v6, 2, v0
	s_waitcnt lgkmcnt(0)
	s_and_b32 s4, s7, 0xffff
	s_mul_i32 s6, s6, s4
	v_add_u32_e32 v1, s6, v0
	v_ashrrev_i32_e32 v2, 31, v1
	v_lshlrev_b64 v[9:10], 4, v[1:2]
	v_mov_b32_e32 v2, s1
	v_add_co_u32_e32 v1, vcc, s0, v9
	v_addc_co_u32_e32 v2, vcc, v2, v10, vcc
	global_load_dwordx4 v[1:4], v[1:2], off
	s_and_b32 s0, s8, 1
	s_cmp_eq_u32 s0, 0
	s_cbranch_scc0 .LBB4_4
; %bb.1:
	s_movk_i32 s0, 0x3ff
	v_cmp_ne_u32_e32 vcc, s0, v0
	s_waitcnt vmcnt(0)
	v_mov_b32_e32 v8, v4
	ds_write_b32 v6, v1 offset:4096
	s_waitcnt lgkmcnt(0)
	s_barrier
	s_and_saveexec_b64 s[0:1], vcc
	s_cbranch_execz .LBB4_3
; %bb.2:
	ds_read_b32 v5, v6 offset:4100
	s_waitcnt lgkmcnt(0)
	v_sub_u32_e32 v8, v4, v5
.LBB4_3:
	s_or_b64 exec, exec, s[0:1]
	v_sub_u32_e32 v5, v1, v2
	v_mov_b32_e32 v11, v3
	s_cbranch_execz .LBB4_5
	s_branch .LBB4_8
.LBB4_4:
                                        ; implicit-def: $vgpr8
	s_waitcnt vmcnt(0)
	v_mov_b32_e32 v11, v3
.LBB4_5:
	v_cmp_ne_u32_e32 vcc, 0, v0
	v_mov_b32_e32 v5, v1
	ds_write_b32 v6, v4
	s_waitcnt lgkmcnt(0)
	s_barrier
	s_and_saveexec_b64 s[0:1], vcc
	s_cbranch_execz .LBB4_7
; %bb.6:
	v_add_u32_e32 v0, -4, v6
	ds_read_b32 v0, v0
	s_waitcnt lgkmcnt(0)
	v_sub_u32_e32 v5, v1, v0
.LBB4_7:
	s_or_b64 exec, exec, s[0:1]
	v_sub_u32_e32 v8, v4, v3
	v_mov_b32_e32 v11, v1
	v_mov_b32_e32 v4, v2
.LBB4_8:
	v_mov_b32_e32 v1, s3
	v_add_co_u32_e32 v0, vcc, s2, v9
	v_sub_u32_e32 v7, v3, v4
	v_sub_u32_e32 v6, v2, v11
	v_addc_co_u32_e32 v1, vcc, v1, v10, vcc
	global_store_dwordx4 v[0:1], v[5:8], off
	s_endpgm
	.section	.rodata,"a",@progbits
	.p2align	6, 0x0
	.amdhsa_kernel _Z18BlockAdjDiffKernelILi1024EEvPKiPib
		.amdhsa_group_segment_fixed_size 8192
		.amdhsa_private_segment_fixed_size 0
		.amdhsa_kernarg_size 280
		.amdhsa_user_sgpr_count 6
		.amdhsa_user_sgpr_private_segment_buffer 1
		.amdhsa_user_sgpr_dispatch_ptr 0
		.amdhsa_user_sgpr_queue_ptr 0
		.amdhsa_user_sgpr_kernarg_segment_ptr 1
		.amdhsa_user_sgpr_dispatch_id 0
		.amdhsa_user_sgpr_flat_scratch_init 0
		.amdhsa_user_sgpr_private_segment_size 0
		.amdhsa_uses_dynamic_stack 0
		.amdhsa_system_sgpr_private_segment_wavefront_offset 0
		.amdhsa_system_sgpr_workgroup_id_x 1
		.amdhsa_system_sgpr_workgroup_id_y 0
		.amdhsa_system_sgpr_workgroup_id_z 0
		.amdhsa_system_sgpr_workgroup_info 0
		.amdhsa_system_vgpr_workitem_id 0
		.amdhsa_next_free_vgpr 29
		.amdhsa_next_free_sgpr 61
		.amdhsa_reserve_vcc 1
		.amdhsa_reserve_flat_scratch 0
		.amdhsa_float_round_mode_32 0
		.amdhsa_float_round_mode_16_64 0
		.amdhsa_float_denorm_mode_32 3
		.amdhsa_float_denorm_mode_16_64 3
		.amdhsa_dx10_clamp 1
		.amdhsa_ieee_mode 1
		.amdhsa_fp16_overflow 0
		.amdhsa_exception_fp_ieee_invalid_op 0
		.amdhsa_exception_fp_denorm_src 0
		.amdhsa_exception_fp_ieee_div_zero 0
		.amdhsa_exception_fp_ieee_overflow 0
		.amdhsa_exception_fp_ieee_underflow 0
		.amdhsa_exception_fp_ieee_inexact 0
		.amdhsa_exception_int_div_zero 0
	.end_amdhsa_kernel
	.section	.text._Z18BlockAdjDiffKernelILi1024EEvPKiPib,"axG",@progbits,_Z18BlockAdjDiffKernelILi1024EEvPKiPib,comdat
.Lfunc_end4:
	.size	_Z18BlockAdjDiffKernelILi1024EEvPKiPib, .Lfunc_end4-_Z18BlockAdjDiffKernelILi1024EEvPKiPib
                                        ; -- End function
	.set _Z18BlockAdjDiffKernelILi1024EEvPKiPib.num_vgpr, 12
	.set _Z18BlockAdjDiffKernelILi1024EEvPKiPib.num_agpr, 0
	.set _Z18BlockAdjDiffKernelILi1024EEvPKiPib.numbered_sgpr, 9
	.set _Z18BlockAdjDiffKernelILi1024EEvPKiPib.num_named_barrier, 0
	.set _Z18BlockAdjDiffKernelILi1024EEvPKiPib.private_seg_size, 0
	.set _Z18BlockAdjDiffKernelILi1024EEvPKiPib.uses_vcc, 1
	.set _Z18BlockAdjDiffKernelILi1024EEvPKiPib.uses_flat_scratch, 0
	.set _Z18BlockAdjDiffKernelILi1024EEvPKiPib.has_dyn_sized_stack, 0
	.set _Z18BlockAdjDiffKernelILi1024EEvPKiPib.has_recursion, 0
	.set _Z18BlockAdjDiffKernelILi1024EEvPKiPib.has_indirect_call, 0
	.section	.AMDGPU.csdata,"",@progbits
; Kernel info:
; codeLenInByte = 276
; TotalNumSgprs: 13
; NumVgprs: 12
; ScratchSize: 0
; MemoryBound: 0
; FloatMode: 240
; IeeeMode: 1
; LDSByteSize: 8192 bytes/workgroup (compile time only)
; SGPRBlocks: 8
; VGPRBlocks: 7
; NumSGPRsForWavesPerEU: 65
; NumVGPRsForWavesPerEU: 29
; Occupancy: 8
; WaveLimiterHint : 0
; COMPUTE_PGM_RSRC2:SCRATCH_EN: 0
; COMPUTE_PGM_RSRC2:USER_SGPR: 6
; COMPUTE_PGM_RSRC2:TRAP_HANDLER: 0
; COMPUTE_PGM_RSRC2:TGID_X_EN: 1
; COMPUTE_PGM_RSRC2:TGID_Y_EN: 0
; COMPUTE_PGM_RSRC2:TGID_Z_EN: 0
; COMPUTE_PGM_RSRC2:TIDIG_COMP_CNT: 0
	.section	.AMDGPU.gpr_maximums,"",@progbits
	.set amdgpu.max_num_vgpr, 0
	.set amdgpu.max_num_agpr, 0
	.set amdgpu.max_num_sgpr, 0
	.section	.AMDGPU.csdata,"",@progbits
	.type	__hip_cuid_e97fcb6cf06d7ad,@object ; @__hip_cuid_e97fcb6cf06d7ad
	.section	.bss,"aw",@nobits
	.globl	__hip_cuid_e97fcb6cf06d7ad
__hip_cuid_e97fcb6cf06d7ad:
	.byte	0                               ; 0x0
	.size	__hip_cuid_e97fcb6cf06d7ad, 1

	.ident	"AMD clang version 22.0.0git (https://github.com/RadeonOpenCompute/llvm-project roc-7.2.4 26084 f58b06dce1f9c15707c5f808fd002e18c2accf7e)"
	.section	".note.GNU-stack","",@progbits
	.addrsig
	.addrsig_sym __hip_cuid_e97fcb6cf06d7ad
	.amdgpu_metadata
---
amdhsa.kernels:
  - .args:
      - .address_space:  global
        .offset:         0
        .size:           8
        .value_kind:     global_buffer
      - .address_space:  global
        .offset:         8
        .size:           8
        .value_kind:     global_buffer
      - .offset:         16
        .size:           1
        .value_kind:     by_value
      - .offset:         24
        .size:           4
        .value_kind:     hidden_block_count_x
      - .offset:         28
        .size:           4
        .value_kind:     hidden_block_count_y
      - .offset:         32
        .size:           4
        .value_kind:     hidden_block_count_z
      - .offset:         36
        .size:           2
        .value_kind:     hidden_group_size_x
      - .offset:         38
        .size:           2
        .value_kind:     hidden_group_size_y
      - .offset:         40
        .size:           2
        .value_kind:     hidden_group_size_z
      - .offset:         42
        .size:           2
        .value_kind:     hidden_remainder_x
      - .offset:         44
        .size:           2
        .value_kind:     hidden_remainder_y
      - .offset:         46
        .size:           2
        .value_kind:     hidden_remainder_z
      - .offset:         64
        .size:           8
        .value_kind:     hidden_global_offset_x
      - .offset:         72
        .size:           8
        .value_kind:     hidden_global_offset_y
      - .offset:         80
        .size:           8
        .value_kind:     hidden_global_offset_z
      - .offset:         88
        .size:           2
        .value_kind:     hidden_grid_dims
    .group_segment_fixed_size: 512
    .kernarg_segment_align: 8
    .kernarg_segment_size: 280
    .language:       OpenCL C
    .language_version:
      - 2
      - 0
    .max_flat_workgroup_size: 1024
    .name:           _Z18BlockAdjDiffKernelILi64EEvPKiPib
    .private_segment_fixed_size: 0
    .sgpr_count:     13
    .sgpr_spill_count: 0
    .symbol:         _Z18BlockAdjDiffKernelILi64EEvPKiPib.kd
    .uniform_work_group_size: 1
    .uses_dynamic_stack: false
    .vgpr_count:     12
    .vgpr_spill_count: 0
    .wavefront_size: 64
  - .args:
      - .address_space:  global
        .offset:         0
        .size:           8
        .value_kind:     global_buffer
      - .address_space:  global
        .offset:         8
        .size:           8
        .value_kind:     global_buffer
      - .offset:         16
        .size:           1
        .value_kind:     by_value
      - .offset:         24
        .size:           4
        .value_kind:     hidden_block_count_x
      - .offset:         28
        .size:           4
        .value_kind:     hidden_block_count_y
      - .offset:         32
        .size:           4
        .value_kind:     hidden_block_count_z
      - .offset:         36
        .size:           2
        .value_kind:     hidden_group_size_x
      - .offset:         38
        .size:           2
        .value_kind:     hidden_group_size_y
      - .offset:         40
        .size:           2
        .value_kind:     hidden_group_size_z
      - .offset:         42
        .size:           2
        .value_kind:     hidden_remainder_x
      - .offset:         44
        .size:           2
        .value_kind:     hidden_remainder_y
      - .offset:         46
        .size:           2
        .value_kind:     hidden_remainder_z
      - .offset:         64
        .size:           8
        .value_kind:     hidden_global_offset_x
      - .offset:         72
        .size:           8
        .value_kind:     hidden_global_offset_y
      - .offset:         80
        .size:           8
        .value_kind:     hidden_global_offset_z
      - .offset:         88
        .size:           2
        .value_kind:     hidden_grid_dims
    .group_segment_fixed_size: 1024
    .kernarg_segment_align: 8
    .kernarg_segment_size: 280
    .language:       OpenCL C
    .language_version:
      - 2
      - 0
    .max_flat_workgroup_size: 1024
    .name:           _Z18BlockAdjDiffKernelILi128EEvPKiPib
    .private_segment_fixed_size: 0
    .sgpr_count:     13
    .sgpr_spill_count: 0
    .symbol:         _Z18BlockAdjDiffKernelILi128EEvPKiPib.kd
    .uniform_work_group_size: 1
    .uses_dynamic_stack: false
    .vgpr_count:     12
    .vgpr_spill_count: 0
    .wavefront_size: 64
  - .args:
      - .address_space:  global
        .offset:         0
        .size:           8
        .value_kind:     global_buffer
      - .address_space:  global
        .offset:         8
        .size:           8
        .value_kind:     global_buffer
      - .offset:         16
        .size:           1
        .value_kind:     by_value
      - .offset:         24
        .size:           4
        .value_kind:     hidden_block_count_x
      - .offset:         28
        .size:           4
        .value_kind:     hidden_block_count_y
      - .offset:         32
        .size:           4
        .value_kind:     hidden_block_count_z
      - .offset:         36
        .size:           2
        .value_kind:     hidden_group_size_x
      - .offset:         38
        .size:           2
        .value_kind:     hidden_group_size_y
      - .offset:         40
        .size:           2
        .value_kind:     hidden_group_size_z
      - .offset:         42
        .size:           2
        .value_kind:     hidden_remainder_x
      - .offset:         44
        .size:           2
        .value_kind:     hidden_remainder_y
      - .offset:         46
        .size:           2
        .value_kind:     hidden_remainder_z
      - .offset:         64
        .size:           8
        .value_kind:     hidden_global_offset_x
      - .offset:         72
        .size:           8
        .value_kind:     hidden_global_offset_y
      - .offset:         80
        .size:           8
        .value_kind:     hidden_global_offset_z
      - .offset:         88
        .size:           2
        .value_kind:     hidden_grid_dims
    .group_segment_fixed_size: 2048
    .kernarg_segment_align: 8
    .kernarg_segment_size: 280
    .language:       OpenCL C
    .language_version:
      - 2
      - 0
    .max_flat_workgroup_size: 1024
    .name:           _Z18BlockAdjDiffKernelILi256EEvPKiPib
    .private_segment_fixed_size: 0
    .sgpr_count:     13
    .sgpr_spill_count: 0
    .symbol:         _Z18BlockAdjDiffKernelILi256EEvPKiPib.kd
    .uniform_work_group_size: 1
    .uses_dynamic_stack: false
    .vgpr_count:     12
    .vgpr_spill_count: 0
    .wavefront_size: 64
  - .args:
      - .address_space:  global
        .offset:         0
        .size:           8
        .value_kind:     global_buffer
      - .address_space:  global
        .offset:         8
        .size:           8
        .value_kind:     global_buffer
      - .offset:         16
        .size:           1
        .value_kind:     by_value
      - .offset:         24
        .size:           4
        .value_kind:     hidden_block_count_x
      - .offset:         28
        .size:           4
        .value_kind:     hidden_block_count_y
      - .offset:         32
        .size:           4
        .value_kind:     hidden_block_count_z
      - .offset:         36
        .size:           2
        .value_kind:     hidden_group_size_x
      - .offset:         38
        .size:           2
        .value_kind:     hidden_group_size_y
      - .offset:         40
        .size:           2
        .value_kind:     hidden_group_size_z
      - .offset:         42
        .size:           2
        .value_kind:     hidden_remainder_x
      - .offset:         44
        .size:           2
        .value_kind:     hidden_remainder_y
      - .offset:         46
        .size:           2
        .value_kind:     hidden_remainder_z
      - .offset:         64
        .size:           8
        .value_kind:     hidden_global_offset_x
      - .offset:         72
        .size:           8
        .value_kind:     hidden_global_offset_y
      - .offset:         80
        .size:           8
        .value_kind:     hidden_global_offset_z
      - .offset:         88
        .size:           2
        .value_kind:     hidden_grid_dims
    .group_segment_fixed_size: 4096
    .kernarg_segment_align: 8
    .kernarg_segment_size: 280
    .language:       OpenCL C
    .language_version:
      - 2
      - 0
    .max_flat_workgroup_size: 1024
    .name:           _Z18BlockAdjDiffKernelILi512EEvPKiPib
    .private_segment_fixed_size: 0
    .sgpr_count:     13
    .sgpr_spill_count: 0
    .symbol:         _Z18BlockAdjDiffKernelILi512EEvPKiPib.kd
    .uniform_work_group_size: 1
    .uses_dynamic_stack: false
    .vgpr_count:     12
    .vgpr_spill_count: 0
    .wavefront_size: 64
  - .args:
      - .address_space:  global
        .offset:         0
        .size:           8
        .value_kind:     global_buffer
      - .address_space:  global
        .offset:         8
        .size:           8
        .value_kind:     global_buffer
      - .offset:         16
        .size:           1
        .value_kind:     by_value
      - .offset:         24
        .size:           4
        .value_kind:     hidden_block_count_x
      - .offset:         28
        .size:           4
        .value_kind:     hidden_block_count_y
      - .offset:         32
        .size:           4
        .value_kind:     hidden_block_count_z
      - .offset:         36
        .size:           2
        .value_kind:     hidden_group_size_x
      - .offset:         38
        .size:           2
        .value_kind:     hidden_group_size_y
      - .offset:         40
        .size:           2
        .value_kind:     hidden_group_size_z
      - .offset:         42
        .size:           2
        .value_kind:     hidden_remainder_x
      - .offset:         44
        .size:           2
        .value_kind:     hidden_remainder_y
      - .offset:         46
        .size:           2
        .value_kind:     hidden_remainder_z
      - .offset:         64
        .size:           8
        .value_kind:     hidden_global_offset_x
      - .offset:         72
        .size:           8
        .value_kind:     hidden_global_offset_y
      - .offset:         80
        .size:           8
        .value_kind:     hidden_global_offset_z
      - .offset:         88
        .size:           2
        .value_kind:     hidden_grid_dims
    .group_segment_fixed_size: 8192
    .kernarg_segment_align: 8
    .kernarg_segment_size: 280
    .language:       OpenCL C
    .language_version:
      - 2
      - 0
    .max_flat_workgroup_size: 1024
    .name:           _Z18BlockAdjDiffKernelILi1024EEvPKiPib
    .private_segment_fixed_size: 0
    .sgpr_count:     13
    .sgpr_spill_count: 0
    .symbol:         _Z18BlockAdjDiffKernelILi1024EEvPKiPib.kd
    .uniform_work_group_size: 1
    .uses_dynamic_stack: false
    .vgpr_count:     12
    .vgpr_spill_count: 0
    .wavefront_size: 64
amdhsa.target:   amdgcn-amd-amdhsa--gfx906
amdhsa.version:
  - 1
  - 2
...

	.end_amdgpu_metadata
